;; amdgpu-corpus repo=ROCm/rocFFT kind=compiled arch=gfx1030 opt=O3
	.text
	.amdgcn_target "amdgcn-amd-amdhsa--gfx1030"
	.amdhsa_code_object_version 6
	.protected	fft_rtc_fwd_len1320_factors_11_2_3_5_4_wgs_165_tpt_165_half_ip_CI_unitstride_sbrr_R2C_dirReg ; -- Begin function fft_rtc_fwd_len1320_factors_11_2_3_5_4_wgs_165_tpt_165_half_ip_CI_unitstride_sbrr_R2C_dirReg
	.globl	fft_rtc_fwd_len1320_factors_11_2_3_5_4_wgs_165_tpt_165_half_ip_CI_unitstride_sbrr_R2C_dirReg
	.p2align	8
	.type	fft_rtc_fwd_len1320_factors_11_2_3_5_4_wgs_165_tpt_165_half_ip_CI_unitstride_sbrr_R2C_dirReg,@function
fft_rtc_fwd_len1320_factors_11_2_3_5_4_wgs_165_tpt_165_half_ip_CI_unitstride_sbrr_R2C_dirReg: ; @fft_rtc_fwd_len1320_factors_11_2_3_5_4_wgs_165_tpt_165_half_ip_CI_unitstride_sbrr_R2C_dirReg
; %bb.0:
	s_clause 0x2
	s_load_dwordx4 s[8:11], s[4:5], 0x0
	s_load_dwordx2 s[2:3], s[4:5], 0x50
	s_load_dwordx2 s[12:13], s[4:5], 0x18
	v_mul_u32_u24_e32 v1, 0x18e, v0
	v_mov_b32_e32 v3, 0
	v_add_nc_u32_sdwa v5, s6, v1 dst_sel:DWORD dst_unused:UNUSED_PAD src0_sel:DWORD src1_sel:WORD_1
	v_mov_b32_e32 v1, 0
	v_mov_b32_e32 v6, v3
	v_mov_b32_e32 v2, 0
	s_waitcnt lgkmcnt(0)
	v_cmp_lt_u64_e64 s0, s[10:11], 2
	s_and_b32 vcc_lo, exec_lo, s0
	s_cbranch_vccnz .LBB0_8
; %bb.1:
	s_load_dwordx2 s[0:1], s[4:5], 0x10
	v_mov_b32_e32 v1, 0
	s_add_u32 s6, s12, 8
	v_mov_b32_e32 v2, 0
	s_addc_u32 s7, s13, 0
	s_mov_b64 s[16:17], 1
	s_waitcnt lgkmcnt(0)
	s_add_u32 s14, s0, 8
	s_addc_u32 s15, s1, 0
.LBB0_2:                                ; =>This Inner Loop Header: Depth=1
	s_load_dwordx2 s[18:19], s[14:15], 0x0
                                        ; implicit-def: $vgpr7_vgpr8
	s_mov_b32 s0, exec_lo
	s_waitcnt lgkmcnt(0)
	v_or_b32_e32 v4, s19, v6
	v_cmpx_ne_u64_e32 0, v[3:4]
	s_xor_b32 s1, exec_lo, s0
	s_cbranch_execz .LBB0_4
; %bb.3:                                ;   in Loop: Header=BB0_2 Depth=1
	v_cvt_f32_u32_e32 v4, s18
	v_cvt_f32_u32_e32 v7, s19
	s_sub_u32 s0, 0, s18
	s_subb_u32 s20, 0, s19
	v_fmac_f32_e32 v4, 0x4f800000, v7
	v_rcp_f32_e32 v4, v4
	v_mul_f32_e32 v4, 0x5f7ffffc, v4
	v_mul_f32_e32 v7, 0x2f800000, v4
	v_trunc_f32_e32 v7, v7
	v_fmac_f32_e32 v4, 0xcf800000, v7
	v_cvt_u32_f32_e32 v7, v7
	v_cvt_u32_f32_e32 v4, v4
	v_mul_lo_u32 v8, s0, v7
	v_mul_hi_u32 v9, s0, v4
	v_mul_lo_u32 v10, s20, v4
	v_add_nc_u32_e32 v8, v9, v8
	v_mul_lo_u32 v9, s0, v4
	v_add_nc_u32_e32 v8, v8, v10
	v_mul_hi_u32 v10, v4, v9
	v_mul_lo_u32 v11, v4, v8
	v_mul_hi_u32 v12, v4, v8
	v_mul_hi_u32 v13, v7, v9
	v_mul_lo_u32 v9, v7, v9
	v_mul_hi_u32 v14, v7, v8
	v_mul_lo_u32 v8, v7, v8
	v_add_co_u32 v10, vcc_lo, v10, v11
	v_add_co_ci_u32_e32 v11, vcc_lo, 0, v12, vcc_lo
	v_add_co_u32 v9, vcc_lo, v10, v9
	v_add_co_ci_u32_e32 v9, vcc_lo, v11, v13, vcc_lo
	v_add_co_ci_u32_e32 v10, vcc_lo, 0, v14, vcc_lo
	v_add_co_u32 v8, vcc_lo, v9, v8
	v_add_co_ci_u32_e32 v9, vcc_lo, 0, v10, vcc_lo
	v_add_co_u32 v4, vcc_lo, v4, v8
	v_add_co_ci_u32_e32 v7, vcc_lo, v7, v9, vcc_lo
	v_mul_hi_u32 v8, s0, v4
	v_mul_lo_u32 v10, s20, v4
	v_mul_lo_u32 v9, s0, v7
	v_add_nc_u32_e32 v8, v8, v9
	v_mul_lo_u32 v9, s0, v4
	v_add_nc_u32_e32 v8, v8, v10
	v_mul_hi_u32 v10, v4, v9
	v_mul_lo_u32 v11, v4, v8
	v_mul_hi_u32 v12, v4, v8
	v_mul_hi_u32 v13, v7, v9
	v_mul_lo_u32 v9, v7, v9
	v_mul_hi_u32 v14, v7, v8
	v_mul_lo_u32 v8, v7, v8
	v_add_co_u32 v10, vcc_lo, v10, v11
	v_add_co_ci_u32_e32 v11, vcc_lo, 0, v12, vcc_lo
	v_add_co_u32 v9, vcc_lo, v10, v9
	v_add_co_ci_u32_e32 v9, vcc_lo, v11, v13, vcc_lo
	v_add_co_ci_u32_e32 v10, vcc_lo, 0, v14, vcc_lo
	v_add_co_u32 v8, vcc_lo, v9, v8
	v_add_co_ci_u32_e32 v9, vcc_lo, 0, v10, vcc_lo
	v_add_co_u32 v4, vcc_lo, v4, v8
	v_add_co_ci_u32_e32 v11, vcc_lo, v7, v9, vcc_lo
	v_mul_hi_u32 v13, v5, v4
	v_mad_u64_u32 v[9:10], null, v6, v4, 0
	v_mad_u64_u32 v[7:8], null, v5, v11, 0
	;; [unrolled: 1-line block ×3, first 2 shown]
	v_add_co_u32 v4, vcc_lo, v13, v7
	v_add_co_ci_u32_e32 v7, vcc_lo, 0, v8, vcc_lo
	v_add_co_u32 v4, vcc_lo, v4, v9
	v_add_co_ci_u32_e32 v4, vcc_lo, v7, v10, vcc_lo
	v_add_co_ci_u32_e32 v7, vcc_lo, 0, v12, vcc_lo
	v_add_co_u32 v4, vcc_lo, v4, v11
	v_add_co_ci_u32_e32 v9, vcc_lo, 0, v7, vcc_lo
	v_mul_lo_u32 v10, s19, v4
	v_mad_u64_u32 v[7:8], null, s18, v4, 0
	v_mul_lo_u32 v11, s18, v9
	v_sub_co_u32 v7, vcc_lo, v5, v7
	v_add3_u32 v8, v8, v11, v10
	v_sub_nc_u32_e32 v10, v6, v8
	v_subrev_co_ci_u32_e64 v10, s0, s19, v10, vcc_lo
	v_add_co_u32 v11, s0, v4, 2
	v_add_co_ci_u32_e64 v12, s0, 0, v9, s0
	v_sub_co_u32 v13, s0, v7, s18
	v_sub_co_ci_u32_e32 v8, vcc_lo, v6, v8, vcc_lo
	v_subrev_co_ci_u32_e64 v10, s0, 0, v10, s0
	v_cmp_le_u32_e32 vcc_lo, s18, v13
	v_cmp_eq_u32_e64 s0, s19, v8
	v_cndmask_b32_e64 v13, 0, -1, vcc_lo
	v_cmp_le_u32_e32 vcc_lo, s19, v10
	v_cndmask_b32_e64 v14, 0, -1, vcc_lo
	v_cmp_le_u32_e32 vcc_lo, s18, v7
	;; [unrolled: 2-line block ×3, first 2 shown]
	v_cndmask_b32_e64 v15, 0, -1, vcc_lo
	v_cmp_eq_u32_e32 vcc_lo, s19, v10
	v_cndmask_b32_e64 v7, v15, v7, s0
	v_cndmask_b32_e32 v10, v14, v13, vcc_lo
	v_add_co_u32 v13, vcc_lo, v4, 1
	v_add_co_ci_u32_e32 v14, vcc_lo, 0, v9, vcc_lo
	v_cmp_ne_u32_e32 vcc_lo, 0, v10
	v_cndmask_b32_e32 v8, v14, v12, vcc_lo
	v_cndmask_b32_e32 v10, v13, v11, vcc_lo
	v_cmp_ne_u32_e32 vcc_lo, 0, v7
	v_cndmask_b32_e32 v8, v9, v8, vcc_lo
	v_cndmask_b32_e32 v7, v4, v10, vcc_lo
.LBB0_4:                                ;   in Loop: Header=BB0_2 Depth=1
	s_andn2_saveexec_b32 s0, s1
	s_cbranch_execz .LBB0_6
; %bb.5:                                ;   in Loop: Header=BB0_2 Depth=1
	v_cvt_f32_u32_e32 v4, s18
	s_sub_i32 s1, 0, s18
	v_rcp_iflag_f32_e32 v4, v4
	v_mul_f32_e32 v4, 0x4f7ffffe, v4
	v_cvt_u32_f32_e32 v4, v4
	v_mul_lo_u32 v7, s1, v4
	v_mul_hi_u32 v7, v4, v7
	v_add_nc_u32_e32 v4, v4, v7
	v_mul_hi_u32 v4, v5, v4
	v_mul_lo_u32 v7, v4, s18
	v_add_nc_u32_e32 v8, 1, v4
	v_sub_nc_u32_e32 v7, v5, v7
	v_subrev_nc_u32_e32 v9, s18, v7
	v_cmp_le_u32_e32 vcc_lo, s18, v7
	v_cndmask_b32_e32 v7, v7, v9, vcc_lo
	v_cndmask_b32_e32 v4, v4, v8, vcc_lo
	v_cmp_le_u32_e32 vcc_lo, s18, v7
	v_add_nc_u32_e32 v8, 1, v4
	v_cndmask_b32_e32 v7, v4, v8, vcc_lo
	v_mov_b32_e32 v8, v3
.LBB0_6:                                ;   in Loop: Header=BB0_2 Depth=1
	s_or_b32 exec_lo, exec_lo, s0
	s_load_dwordx2 s[0:1], s[6:7], 0x0
	v_mul_lo_u32 v4, v8, s18
	v_mul_lo_u32 v11, v7, s19
	v_mad_u64_u32 v[9:10], null, v7, s18, 0
	s_add_u32 s16, s16, 1
	s_addc_u32 s17, s17, 0
	s_add_u32 s6, s6, 8
	s_addc_u32 s7, s7, 0
	;; [unrolled: 2-line block ×3, first 2 shown]
	v_add3_u32 v4, v10, v11, v4
	v_sub_co_u32 v5, vcc_lo, v5, v9
	v_sub_co_ci_u32_e32 v4, vcc_lo, v6, v4, vcc_lo
	s_waitcnt lgkmcnt(0)
	v_mul_lo_u32 v6, s1, v5
	v_mul_lo_u32 v4, s0, v4
	v_mad_u64_u32 v[1:2], null, s0, v5, v[1:2]
	v_cmp_ge_u64_e64 s0, s[16:17], s[10:11]
	s_and_b32 vcc_lo, exec_lo, s0
	v_add3_u32 v2, v6, v2, v4
	s_cbranch_vccnz .LBB0_9
; %bb.7:                                ;   in Loop: Header=BB0_2 Depth=1
	v_mov_b32_e32 v5, v7
	v_mov_b32_e32 v6, v8
	s_branch .LBB0_2
.LBB0_8:
	v_mov_b32_e32 v8, v6
	v_mov_b32_e32 v7, v5
.LBB0_9:
	s_lshl_b64 s[0:1], s[10:11], 3
	v_mul_hi_u32 v3, 0x18d3019, v0
	s_add_u32 s0, s12, s0
	s_addc_u32 s1, s13, s1
	s_load_dwordx2 s[0:1], s[0:1], 0x0
	s_load_dwordx2 s[4:5], s[4:5], 0x20
	v_mul_u32_u24_e32 v3, 0xa5, v3
	v_sub_nc_u32_e32 v0, v0, v3
	v_lshl_add_u32 v14, v0, 2, 0
	s_waitcnt lgkmcnt(0)
	v_mul_lo_u32 v4, s0, v8
	v_mul_lo_u32 v5, s1, v7
	v_mad_u64_u32 v[1:2], null, s0, v7, v[1:2]
	v_cmp_gt_u64_e32 vcc_lo, s[4:5], v[7:8]
	v_add3_u32 v2, v5, v2, v4
	v_lshlrev_b64 v[2:3], 2, v[1:2]
	s_and_saveexec_b32 s1, vcc_lo
	s_cbranch_execz .LBB0_11
; %bb.10:
	v_mov_b32_e32 v1, 0
	v_add_nc_u32_e32 v13, 0xf00, v14
	v_lshlrev_b64 v[4:5], 2, v[0:1]
	v_add_co_u32 v1, s0, s2, v2
	v_add_co_ci_u32_e64 v6, s0, s3, v3, s0
	v_add_co_u32 v4, s0, v1, v4
	v_add_co_ci_u32_e64 v5, s0, v6, v5, s0
	;; [unrolled: 2-line block ×4, first 2 shown]
	s_clause 0x7
	global_load_dword v1, v[4:5], off
	global_load_dword v10, v[4:5], off offset:660
	global_load_dword v11, v[4:5], off offset:1320
	;; [unrolled: 1-line block ×7, first 2 shown]
	v_add_nc_u32_e32 v8, 0x400, v14
	v_add_nc_u32_e32 v9, 0xa00, v14
	s_waitcnt vmcnt(6)
	ds_write2_b32 v14, v1, v10 offset1:165
	s_waitcnt vmcnt(4)
	ds_write2_b32 v8, v11, v4 offset0:74 offset1:239
	s_waitcnt vmcnt(2)
	ds_write2_b32 v9, v5, v12 offset0:20 offset1:185
	;; [unrolled: 2-line block ×3, first 2 shown]
.LBB0_11:
	s_or_b32 exec_lo, exec_lo, s1
	s_waitcnt lgkmcnt(0)
	s_barrier
	buffer_gl0_inv
	ds_read2_b32 v[4:5], v14 offset1:120
	ds_read_b32 v20, v14 offset:4800
	v_add_nc_u32_e32 v1, 0x200, v14
	v_add_nc_u32_e32 v6, 0xe00, v14
	ds_read2_b32 v[12:13], v1 offset0:112 offset1:232
	ds_read2_b32 v[6:7], v6 offset0:64 offset1:184
	v_add_nc_u32_e32 v18, 0x600, v14
	v_add_nc_u32_e32 v19, 0xa00, v14
	v_mov_b32_e32 v39, 0xbb47
	ds_read2_b32 v[10:11], v18 offset0:96 offset1:216
	ds_read2_b32 v[8:9], v19 offset0:80 offset1:200
	v_mov_b32_e32 v38, 0xba0c
	v_mov_b32_e32 v1, 0x3482
	;; [unrolled: 1-line block ×3, first 2 shown]
	s_mov_b32 s1, exec_lo
	s_waitcnt lgkmcnt(0)
	s_barrier
	buffer_gl0_inv
	v_pk_add_f16 v21, v5, v20 neg_lo:[0,1] neg_hi:[0,1]
	v_pk_add_f16 v24, v20, v5
	v_mul_f16_sdwa v40, v21, v39 dst_sel:DWORD dst_unused:UNUSED_PAD src0_sel:WORD_1 src1_sel:DWORD
	v_pk_add_f16 v23, v12, v7 neg_lo:[0,1] neg_hi:[0,1]
	v_pk_mul_f16 v15, 0x36a6b08e, v24
	v_lshrrev_b32_e32 v37, 16, v24
	v_mul_f16_e32 v51, 0xbbeb, v21
	v_pk_add_f16 v27, v7, v12
	v_fmamk_f16 v16, v24, 0x36a6, v40
	v_mul_f16_sdwa v45, v23, v38 dst_sel:DWORD dst_unused:UNUSED_PAD src0_sel:WORD_1 src1_sel:DWORD
	v_pk_add_f16 v22, v13, v6 neg_lo:[0,1] neg_hi:[0,1]
	v_pk_fma_f16 v41, 0xbbebbb47, v21, v15 op_sel:[0,0,1] op_sel_hi:[1,1,0] neg_lo:[0,1,0] neg_hi:[0,1,0]
	v_pk_fma_f16 v42, 0xbbebbb47, v21, v15 op_sel:[0,0,1] op_sel_hi:[1,1,0]
	v_fma_f16 v15, v37, 0xb08e, -v51
	v_lshrrev_b32_e32 v31, 16, v27
	v_mul_f16_e32 v52, 0x3482, v23
	v_add_f16_e32 v16, v4, v16
	v_fmamk_f16 v25, v27, 0xb93d, v45
	v_pk_add_f16 v26, v6, v13
	v_pk_mul_f16 v17, 0xb93dbbad, v27
	v_add_f16_sdwa v15, v4, v15 dst_sel:DWORD dst_unused:UNUSED_PAD src0_sel:WORD_1 src1_sel:DWORD
	v_fma_f16 v28, v31, 0xbbad, -v52
	v_mul_f16_sdwa v44, v22, v1 dst_sel:DWORD dst_unused:UNUSED_PAD src0_sel:WORD_1 src1_sel:DWORD
	v_add_f16_e32 v1, v25, v16
	v_pk_add_f16 v25, v10, v9 neg_lo:[0,1] neg_hi:[0,1]
	v_pk_fma_f16 v43, 0x3482ba0c, v23, v17 op_sel:[0,0,1] op_sel_hi:[1,1,0] neg_lo:[0,1,0] neg_hi:[0,1,0]
	v_pk_fma_f16 v46, 0x3482ba0c, v23, v17 op_sel:[0,0,1] op_sel_hi:[1,1,0]
	v_add_f16_e32 v15, v28, v15
	v_fmamk_f16 v16, v26, 0xbbad, v44
	v_lshrrev_b32_e32 v32, 16, v26
	v_mul_f16_e32 v54, 0x3b47, v22
	v_pk_mul_f16 v17, 0xbbad36a6, v26
	v_pk_add_f16 v28, v9, v10
	v_mul_f16_sdwa v47, v25, v34 dst_sel:DWORD dst_unused:UNUSED_PAD src0_sel:WORD_1 src1_sel:DWORD
	v_add_f16_e32 v1, v16, v1
	v_fma_f16 v16, v32, 0x36a6, -v54
	v_pk_fma_f16 v48, 0x3b473482, v22, v17 op_sel:[0,0,1] op_sel_hi:[1,1,0] neg_lo:[0,1,0] neg_hi:[0,1,0]
	v_pk_fma_f16 v49, 0x3b473482, v22, v17 op_sel:[0,0,1] op_sel_hi:[1,1,0]
	v_fmamk_f16 v17, v28, 0xb08e, v47
	v_lshrrev_b32_e32 v33, 16, v28
	v_mul_f16_e32 v57, 0xb853, v25
	v_add_f16_e32 v15, v16, v15
	v_pk_add_f16 v29, v11, v8 neg_lo:[0,1] neg_hi:[0,1]
	v_add_f16_e32 v1, v17, v1
	v_mov_b32_e32 v16, 0x3853
	v_fma_f16 v17, v33, 0x3abb, -v57
	v_add_f16_sdwa v36, v4, v41 dst_sel:DWORD dst_unused:UNUSED_PAD src0_sel:WORD_1 src1_sel:DWORD
	v_add_f16_sdwa v56, v4, v42 dst_sel:DWORD dst_unused:UNUSED_PAD src0_sel:DWORD src1_sel:WORD_1
	v_pk_mul_f16 v35, 0xb08e3abb, v28
	v_pk_add_f16 v30, v8, v11
	v_mul_f16_sdwa v53, v29, v16 dst_sel:DWORD dst_unused:UNUSED_PAD src0_sel:WORD_1 src1_sel:DWORD
	v_add_f16_e32 v16, v43, v36
	v_add_f16_e32 v17, v17, v15
	v_add_f16_sdwa v15, v46, v56 dst_sel:DWORD dst_unused:UNUSED_PAD src0_sel:WORD_1 src1_sel:DWORD
	v_pk_fma_f16 v50, 0xb8533beb, v25, v35 op_sel:[0,0,1] op_sel_hi:[1,1,0] neg_lo:[0,1,0] neg_hi:[0,1,0]
	v_pk_fma_f16 v55, 0xb8533beb, v25, v35 op_sel:[0,0,1] op_sel_hi:[1,1,0]
	v_pk_mul_f16 v58, 0x3abbb93d, v30
	v_add_f16_e32 v16, v48, v16
	v_lshrrev_b32_e32 v35, 16, v30
	v_add_f16_sdwa v15, v49, v15 dst_sel:DWORD dst_unused:UNUSED_PAD src0_sel:WORD_1 src1_sel:DWORD
	v_mul_f16_e32 v59, 0xba0c, v29
	v_fmamk_f16 v36, v30, 0x3abb, v53
	v_pk_fma_f16 v56, 0xba0c3853, v29, v58 op_sel:[0,0,1] op_sel_hi:[1,1,0] neg_lo:[0,1,0] neg_hi:[0,1,0]
	v_add_f16_e32 v16, v50, v16
	v_pk_fma_f16 v58, 0xba0c3853, v29, v58 op_sel:[0,0,1] op_sel_hi:[1,1,0]
	v_add_f16_sdwa v60, v55, v15 dst_sel:DWORD dst_unused:UNUSED_PAD src0_sel:WORD_1 src1_sel:DWORD
	v_fma_f16 v61, v35, 0xb93d, -v59
	v_add_f16_e32 v1, v36, v1
	v_add_f16_e32 v15, v56, v16
	v_add_f16_sdwa v16, v58, v60 dst_sel:DWORD dst_unused:UNUSED_PAD src0_sel:WORD_1 src1_sel:DWORD
	v_add_f16_e32 v17, v61, v17
	v_cmpx_gt_u32_e32 0x78, v0
	s_cbranch_execz .LBB0_13
; %bb.12:
	v_mul_f16_e32 v36, 0xb93d, v37
	v_mul_f16_sdwa v61, v21, v38 dst_sel:DWORD dst_unused:UNUSED_PAD src0_sel:WORD_1 src1_sel:DWORD
	v_mul_f16_e32 v60, 0xb08e, v31
	v_mul_f16_sdwa v62, v23, v34 dst_sel:DWORD dst_unused:UNUSED_PAD src0_sel:WORD_1 src1_sel:DWORD
	v_mov_b32_e32 v63, 0xb853
	v_fmamk_f16 v34, v21, 0x3a0c, v36
	v_fmamk_f16 v65, v24, 0xb93d, v61
	v_mul_f16_e32 v64, 0x3abb, v32
	v_fmamk_f16 v66, v23, 0xbbeb, v60
	v_mul_f16_sdwa v67, v22, v63 dst_sel:DWORD dst_unused:UNUSED_PAD src0_sel:WORD_1 src1_sel:DWORD
	v_add_f16_sdwa v34, v4, v34 dst_sel:DWORD dst_unused:UNUSED_PAD src0_sel:WORD_1 src1_sel:DWORD
	v_fmamk_f16 v68, v27, 0xb08e, v62
	v_add_f16_e32 v65, v4, v65
	v_fmamk_f16 v69, v22, 0x3853, v64
	v_fmamk_f16 v70, v26, 0x3abb, v67
	v_add_f16_e32 v34, v66, v34
	v_mul_f16_e32 v66, 0xbbad, v33
	v_add_f16_e32 v65, v68, v65
	v_mov_b32_e32 v68, 0xb482
	v_fmac_f16_e32 v36, 0xba0c, v21
	v_add_f16_e32 v34, v69, v34
	v_fmamk_f16 v69, v25, 0x3482, v66
	v_add_f16_e32 v65, v70, v65
	v_mul_f16_sdwa v70, v25, v68 dst_sel:DWORD dst_unused:UNUSED_PAD src0_sel:WORD_1 src1_sel:DWORD
	v_mov_b32_e32 v72, 0x3b47
	v_add_f16_sdwa v36, v4, v36 dst_sel:DWORD dst_unused:UNUSED_PAD src0_sel:WORD_1 src1_sel:DWORD
	v_fmac_f16_e32 v60, 0x3beb, v23
	v_add_f16_e32 v34, v69, v34
	v_fmamk_f16 v69, v28, 0xbbad, v70
	v_mul_f16_sdwa v72, v29, v72 dst_sel:DWORD dst_unused:UNUSED_PAD src0_sel:WORD_1 src1_sel:DWORD
	v_fmac_f16_e32 v64, 0xb853, v22
	v_add_f16_e32 v36, v60, v36
	v_fma_f16 v61, v24, 0xb93d, -v61
	v_add_f16_e32 v60, v69, v65
	v_fmamk_f16 v65, v30, 0x36a6, v72
	v_mul_f16_e32 v69, 0xb08e, v37
	v_add_f16_e32 v64, v64, v36
	v_add_f16_e32 v61, v4, v61
	v_fma_f16 v62, v27, 0xb08e, -v62
	v_add_f16_e32 v36, v65, v60
	v_mul_f16_e32 v60, 0xbbad, v31
	v_add_f16_e32 v51, v51, v69
	v_bfi_b32 v41, 0xffff, v42, v41
	v_add_f16_e32 v61, v62, v61
	v_fma_f16 v62, v26, 0x3abb, -v67
	v_add_f16_e32 v52, v52, v60
	v_add_f16_sdwa v51, v4, v51 dst_sel:DWORD dst_unused:UNUSED_PAD src0_sel:WORD_1 src1_sel:DWORD
	v_mul_f16_e32 v60, 0x36a6, v32
	v_mul_f16_e32 v42, 0xb853, v21
	v_add_f16_e32 v61, v62, v61
	v_fma_f16 v62, v28, 0xbbad, -v70
	v_add_f16_e32 v51, v52, v51
	v_add_f16_e32 v52, v54, v60
	v_mul_f16_e32 v54, 0x3abb, v33
	v_bfi_b32 v43, 0xffff, v46, v43
	v_add_f16_e32 v61, v62, v61
	v_fma_f16 v62, v30, 0x36a6, -v72
	v_add_f16_e32 v51, v52, v51
	v_add_f16_e32 v52, v57, v54
	v_mul_f16_e32 v54, 0x36a6, v24
	v_mul_f16_e32 v57, 0xb93d, v35
	v_add_f16_e32 v61, v62, v61
	v_mul_f16_e32 v62, 0xb93d, v27
	v_add_f16_e32 v51, v52, v51
	v_sub_f16_e32 v40, v54, v40
	v_add_f16_e32 v52, v59, v57
	v_mul_f16_e32 v57, 0xbbad, v26
	v_sub_f16_e32 v45, v62, v45
	v_fmamk_f16 v46, v37, 0x3abb, v42
	v_add_f16_e32 v40, v4, v40
	v_add_f16_e32 v51, v52, v51
	v_mul_f16_e32 v52, 0xb08e, v28
	v_sub_f16_e32 v44, v57, v44
	v_mul_f16_e32 v57, 0xbb47, v23
	v_add_f16_e32 v40, v45, v40
	v_mul_f16_e32 v45, 0x3abb, v30
	v_bfi_b32 v48, 0xffff, v49, v48
	v_add_f16_sdwa v46, v4, v46 dst_sel:DWORD dst_unused:UNUSED_PAD src0_sel:WORD_1 src1_sel:DWORD
	v_mul_f16_e32 v49, 0xbbeb, v22
	v_add_f16_e32 v40, v44, v40
	v_sub_f16_e32 v44, v52, v47
	v_fmamk_f16 v47, v31, 0x36a6, v57
	v_mul_f16_sdwa v39, v23, v39 dst_sel:DWORD dst_unused:UNUSED_PAD src0_sel:WORD_1 src1_sel:DWORD
	v_pk_add_f16 v5, v4, v5
	v_bfi_b32 v52, 0xffff, v58, v56
	v_add_f16_e32 v40, v44, v40
	v_sub_f16_e32 v44, v45, v53
	v_add_f16_e32 v45, v47, v46
	v_fmamk_f16 v46, v32, 0xb08e, v49
	v_mul_f16_sdwa v47, v21, v63 dst_sel:DWORD dst_unused:UNUSED_PAD src0_sel:WORD_1 src1_sel:DWORD
	v_mov_b32_e32 v53, 0xbbeb
	v_fma_f16 v58, v27, 0x36a6, -v39
	v_pk_add_f16 v5, v5, v12
	v_add_f16_e32 v45, v46, v45
	v_fma_f16 v46, v24, 0x3abb, -v47
	v_mul_f16_sdwa v53, v22, v53 dst_sel:DWORD dst_unused:UNUSED_PAD src0_sel:WORD_1 src1_sel:DWORD
	v_mul_f16_sdwa v38, v25, v38 dst_sel:DWORD dst_unused:UNUSED_PAD src0_sel:WORD_1 src1_sel:DWORD
	v_fma_f16 v12, v37, 0x3abb, -v42
	v_pk_add_f16 v5, v5, v13
	v_add_f16_e32 v46, v4, v46
	v_fmac_f16_e32 v47, 0x3abb, v24
	v_fma_f16 v42, v28, 0xb93d, -v38
	v_add_f16_sdwa v12, v4, v12 dst_sel:DWORD dst_unused:UNUSED_PAD src0_sel:WORD_1 src1_sel:DWORD
	v_fma_f16 v13, v31, 0x36a6, -v57
	v_add_f16_e32 v46, v58, v46
	v_fma_f16 v58, v26, 0xb08e, -v53
	v_pk_add_f16 v5, v5, v10
	v_add_f16_e32 v40, v44, v40
	v_mul_f16_e32 v44, 0xba0c, v25
	v_fmac_f16_e32 v39, 0x36a6, v27
	v_add_f16_e32 v37, v58, v46
	v_add_f16_e32 v10, v13, v12
	v_fma_f16 v12, v32, 0xb08e, -v49
	v_pk_add_f16 v5, v5, v11
	v_mul_f16_e32 v56, 0xb482, v29
	v_add_f16_e32 v31, v42, v37
	v_add_f16_e32 v37, v4, v47
	v_fmac_f16_e32 v53, 0xb08e, v26
	v_add_f16_e32 v10, v12, v10
	v_fma_f16 v12, v33, 0xb93d, -v44
	v_pk_add_f16 v5, v5, v8
	v_add_f16_e32 v11, v39, v37
	v_mul_f16_sdwa v13, v29, v68 dst_sel:DWORD dst_unused:UNUSED_PAD src0_sel:WORD_1 src1_sel:DWORD
	v_fmac_f16_e32 v38, 0xb93d, v28
	v_add_f16_e32 v10, v12, v10
	v_pk_add_f16 v5, v5, v9
	v_add_f16_e32 v11, v53, v11
	v_fma_f16 v9, v35, 0xbbad, -v56
	v_fma_f16 v8, v30, 0xbbad, -v13
	v_fmac_f16_e32 v13, 0xbbad, v30
	v_pk_add_f16 v5, v5, v6
	v_add_f16_e32 v11, v38, v11
	v_add_f16_e32 v6, v9, v10
	v_pk_mul_f16 v10, 0xbbad, v24 op_sel_hi:[0,1]
	v_alignbit_b32 v54, s0, v4, 16
	v_pk_add_f16 v5, v5, v7
	v_add_f16_e32 v11, v13, v11
	v_pk_mul_f16 v13, 0x3abb, v27 op_sel_hi:[0,1]
	v_pk_fma_f16 v12, 0xb482, v21, v10 op_sel:[0,0,1] op_sel_hi:[0,1,0] neg_lo:[0,1,0] neg_hi:[0,1,0]
	v_pk_mul_f16 v26, 0xb93d, v26 op_sel_hi:[0,1]
	v_pk_add_f16 v5, v5, v20
	v_pk_fma_f16 v10, 0xb482, v21, v10 op_sel:[0,0,1] op_sel_hi:[0,1,0]
	v_pk_fma_f16 v24, 0x3853, v23, v13 op_sel:[0,0,1] op_sel_hi:[0,1,0] neg_lo:[0,1,0] neg_hi:[0,1,0]
	v_pk_add_f16 v20, v54, v12
	v_alignbit_b32 v12, s0, v12, 16
	v_pk_add_f16 v9, v4, v41 op_sel:[1,0] op_sel_hi:[0,1]
	v_bfi_b32 v50, 0xffff, v55, v50
	v_fmamk_f16 v55, v33, 0xb93d, v44
	v_pk_add_f16 v20, v24, v20
	v_pk_fma_f16 v21, 0xba0c, v22, v26 op_sel:[0,0,1] op_sel_hi:[0,1,0] neg_lo:[0,1,0] neg_hi:[0,1,0]
	v_pk_add_f16 v10, v4, v10 op_sel:[1,0] op_sel_hi:[0,1]
	v_pk_fma_f16 v13, 0x3853, v23, v13 op_sel:[0,0,1] op_sel_hi:[0,1,0]
	v_pk_add_f16 v4, v4, v12
	v_alignbit_b32 v12, s0, v24, 16
	v_pk_mul_f16 v23, 0x36a6, v28 op_sel_hi:[0,1]
	v_pk_add_f16 v9, v43, v9
	v_add_f16_e32 v45, v55, v45
	v_fmamk_f16 v55, v35, 0xbbad, v56
	v_pk_add_f16 v20, v21, v20
	v_pk_add_f16 v10, v13, v10
	v_pk_fma_f16 v13, 0xba0c, v22, v26 op_sel:[0,0,1] op_sel_hi:[0,1,0]
	v_pk_add_f16 v4, v12, v4
	v_alignbit_b32 v12, s0, v21, 16
	v_pk_fma_f16 v21, 0x3b47, v25, v23 op_sel:[0,0,1] op_sel_hi:[0,1,0] neg_lo:[0,1,0] neg_hi:[0,1,0]
	v_pk_mul_f16 v22, 0xb08e, v30 op_sel_hi:[0,1]
	v_pk_add_f16 v9, v48, v9
	v_mul_f16_e32 v71, 0x36a6, v35
	v_fmac_f16_e32 v66, 0xb482, v25
	v_add_f16_e32 v45, v55, v45
	v_add_f16_e32 v8, v8, v31
	v_pk_add_f16 v10, v13, v10
	v_pk_fma_f16 v13, 0x3b47, v25, v23 op_sel:[0,0,1] op_sel_hi:[0,1,0]
	v_pk_add_f16 v4, v12, v4
	v_alignbit_b32 v12, s0, v21, 16
	v_pk_fma_f16 v23, 0xbbeb, v29, v22 op_sel:[0,0,1] op_sel_hi:[0,1,0] neg_lo:[0,1,0] neg_hi:[0,1,0]
	v_pk_add_f16 v9, v50, v9
	v_fmamk_f16 v73, v29, 0xbb47, v71
	v_add_f16_e32 v64, v66, v64
	v_fmac_f16_e32 v71, 0x3b47, v29
	v_mad_u32_u24 v7, v0, 40, v14
	v_pack_b32_f16 v8, v8, v45
	v_pk_add_f16 v20, v21, v20
	v_pk_add_f16 v10, v13, v10
	v_pk_fma_f16 v13, 0xbbeb, v29, v22 op_sel:[0,0,1] op_sel_hi:[0,1,0]
	v_pk_add_f16 v4, v12, v4
	v_alignbit_b32 v12, s0, v23, 16
	v_pk_add_f16 v9, v52, v9
	v_add_f16_e32 v60, v71, v64
	ds_write2_b32 v7, v5, v8 offset1:1
	v_pk_add_f16 v5, v23, v20
	v_pk_add_f16 v8, v13, v10
	;; [unrolled: 1-line block ×3, first 2 shown]
	v_add_f16_e32 v34, v73, v34
	v_alignbit_b32 v10, v51, v9, 16
	v_pack_b32_f16 v9, v40, v9
	v_pack_b32_f16 v12, v61, v60
	v_alignbit_b32 v5, v5, v8, 16
	v_pack_b32_f16 v4, v4, v8
	v_pack_b32_f16 v8, v36, v34
	v_perm_b32 v13, v17, v16, 0x5040100
	v_pack_b32_f16 v6, v11, v6
	v_perm_b32 v11, v15, v1, 0x5040100
	ds_write2_b32 v7, v9, v10 offset0:2 offset1:3
	ds_write_b32 v7, v12 offset:16
	ds_write2_b32 v7, v4, v5 offset0:5 offset1:6
	ds_write2_b32 v7, v8, v13 offset0:7 offset1:8
	;; [unrolled: 1-line block ×3, first 2 shown]
.LBB0_13:
	s_or_b32 exec_lo, exec_lo, s1
	v_and_b32_e32 v20, 0xff, v0
	v_add_nc_u32_e32 v6, 0x1ef, v0
	v_mov_b32_e32 v7, 0xba2f
	v_add_nc_u32_e32 v13, 0x14a, v0
	v_add_nc_u32_e32 v10, 0xa5, v0
	v_mul_lo_u16 v4, 0x75, v20
	v_mov_b32_e32 v21, 2
	v_mul_u32_u24_sdwa v8, v6, v7 dst_sel:DWORD dst_unused:UNUSED_PAD src0_sel:WORD_0 src1_sel:DWORD
	v_mul_u32_u24_sdwa v22, v13, v7 dst_sel:DWORD dst_unused:UNUSED_PAD src0_sel:WORD_0 src1_sel:DWORD
	;; [unrolled: 1-line block ×3, first 2 shown]
	v_lshrrev_b16 v4, 8, v4
	s_waitcnt lgkmcnt(0)
	v_lshrrev_b32_e32 v11, 19, v8
	v_lshrrev_b32_e32 v12, 19, v22
	;; [unrolled: 1-line block ×3, first 2 shown]
	v_sub_nc_u16 v5, v0, v4
	s_barrier
	buffer_gl0_inv
	v_mul_u32_u24_e32 v36, 0x58, v11
	v_mul_lo_u16 v7, v24, 11
	v_lshrrev_b16 v5, 1, v5
	v_mul_u32_u24_e32 v35, 0x58, v12
	v_mul_u32_u24_e32 v24, 0x58, v24
	v_mov_b32_e32 v34, 0x58
	v_add_nc_u32_e32 v37, 0xd00, v14
	v_and_b32_e32 v5, 0x7f, v5
	v_cmp_gt_u32_e64 s0, 0x6e, v0
	v_add_nc_u16 v4, v5, v4
	v_mul_lo_u16 v5, v12, 11
	v_lshrrev_b16 v25, 3, v4
	v_mul_lo_u16 v4, v11, 11
	v_sub_nc_u16 v5, v13, v5
	v_mul_lo_u16 v8, v25, 11
	v_sub_nc_u16 v4, v6, v4
	v_sub_nc_u16 v6, v10, v7
	v_lshlrev_b32_sdwa v27, v21, v5 dst_sel:DWORD dst_unused:UNUSED_PAD src0_sel:DWORD src1_sel:WORD_0
	v_mul_u32_u24_sdwa v25, v25, v34 dst_sel:DWORD dst_unused:UNUSED_PAD src0_sel:WORD_0 src1_sel:DWORD
	v_sub_nc_u16 v7, v0, v8
	v_lshlrev_b32_sdwa v26, v21, v4 dst_sel:DWORD dst_unused:UNUSED_PAD src0_sel:DWORD src1_sel:WORD_0
	v_lshlrev_b32_sdwa v28, v21, v6 dst_sel:DWORD dst_unused:UNUSED_PAD src0_sel:DWORD src1_sel:WORD_0
	v_add_nc_u32_e32 v4, 0xf00, v14
	v_lshlrev_b32_sdwa v29, v21, v7 dst_sel:DWORD dst_unused:UNUSED_PAD src0_sel:DWORD src1_sel:BYTE_0
	s_clause 0x3
	global_load_dword v30, v26, s[8:9]
	global_load_dword v31, v27, s[8:9]
	global_load_dword v32, v28, s[8:9]
	global_load_dword v33, v29, s[8:9]
	ds_read2_b32 v[4:5], v4 offset0:30 offset1:195
	ds_read2_b32 v[6:7], v19 offset0:20 offset1:185
	ds_read2_b32 v[8:9], v14 offset1:165
	v_add_nc_u32_e32 v19, 0x400, v14
	v_add3_u32 v26, 0, v36, v26
	v_add3_u32 v27, 0, v35, v27
	;; [unrolled: 1-line block ×4, first 2 shown]
	ds_read2_b32 v[11:12], v19 offset0:74 offset1:239
	s_waitcnt vmcnt(0) lgkmcnt(0)
	s_barrier
	buffer_gl0_inv
	v_pk_mul_f16 v19, v30, v5 op_sel:[0,1]
	v_pk_mul_f16 v28, v31, v4 op_sel:[0,1]
	;; [unrolled: 1-line block ×4, first 2 shown]
	v_pk_fma_f16 v34, v30, v5, v19 op_sel:[0,0,1] op_sel_hi:[1,1,0] neg_lo:[0,0,1] neg_hi:[0,0,1]
	v_pk_fma_f16 v38, v31, v4, v28 op_sel:[0,0,1] op_sel_hi:[1,1,0] neg_lo:[0,0,1] neg_hi:[0,0,1]
	;; [unrolled: 1-line block ×4, first 2 shown]
	v_pk_fma_f16 v6, v33, v6, v36 op_sel:[0,0,1] op_sel_hi:[1,0,0]
	v_pk_fma_f16 v7, v32, v7, v35 op_sel:[0,0,1] op_sel_hi:[1,0,0]
	;; [unrolled: 1-line block ×4, first 2 shown]
	v_bfi_b32 v6, 0xffff, v40, v6
	v_bfi_b32 v7, 0xffff, v39, v7
	;; [unrolled: 1-line block ×4, first 2 shown]
	v_pk_add_f16 v6, v8, v6 neg_lo:[0,1] neg_hi:[0,1]
	v_pk_add_f16 v7, v9, v7 neg_lo:[0,1] neg_hi:[0,1]
	;; [unrolled: 1-line block ×4, first 2 shown]
	v_pk_fma_f16 v5, v8, 2.0, v6 op_sel_hi:[1,0,1] neg_lo:[0,0,1] neg_hi:[0,0,1]
	v_pk_fma_f16 v8, v9, 2.0, v7 op_sel_hi:[1,0,1] neg_lo:[0,0,1] neg_hi:[0,0,1]
	v_pk_fma_f16 v9, v11, 2.0, v4 op_sel_hi:[1,0,1] neg_lo:[0,0,1] neg_hi:[0,0,1]
	v_pk_fma_f16 v11, v12, 2.0, v19 op_sel_hi:[1,0,1] neg_lo:[0,0,1] neg_hi:[0,0,1]
	ds_write2_b32 v25, v5, v6 offset1:11
	ds_write2_b32 v24, v8, v7 offset1:11
	;; [unrolled: 1-line block ×4, first 2 shown]
	s_waitcnt lgkmcnt(0)
	s_barrier
	buffer_gl0_inv
	ds_read2_b32 v[4:5], v14 offset1:165
	ds_read2_b32 v[8:9], v18 offset0:56 offset1:221
	ds_read2_b32 v[6:7], v37 offset0:48 offset1:213
	v_lshrrev_b32_e32 v12, 16, v11
	v_lshrrev_b32_e32 v18, 16, v19
	s_and_saveexec_b32 s1, s0
	s_cbranch_execz .LBB0_15
; %bb.14:
	ds_read_b32 v11, v14 offset:1320
	ds_read_b32 v19, v14 offset:3080
	;; [unrolled: 1-line block ×3, first 2 shown]
	s_waitcnt lgkmcnt(2)
	v_lshrrev_b32_e32 v12, 16, v11
	s_waitcnt lgkmcnt(1)
	v_lshrrev_b32_e32 v18, 16, v19
	;; [unrolled: 2-line block ×3, first 2 shown]
.LBB0_15:
	s_or_b32 exec_lo, exec_lo, s1
	v_lshrrev_b16 v24, 1, v0
	v_lshrrev_b32_e32 v31, 20, v23
	v_lshrrev_b32_e32 v22, 20, v22
	v_mov_b32_e32 v26, 3
	v_mov_b32_e32 v37, 0x108
	v_and_b32_e32 v24, 0x7f, v24
	s_waitcnt lgkmcnt(1)
	v_lshrrev_b32_e32 v34, 16, v8
	s_waitcnt lgkmcnt(0)
	v_lshrrev_b32_e32 v35, 16, v6
	v_lshrrev_b32_e32 v36, 16, v9
	v_lshrrev_b32_e32 v38, 16, v7
	v_mul_lo_u16 v24, 0xbb, v24
	v_lshrrev_b32_e32 v39, 16, v4
	v_lshrrev_b16 v30, 11, v24
	v_mul_lo_u16 v24, v31, 22
	v_mul_u32_u24_e32 v31, 0x108, v31
	v_mul_lo_u16 v23, v30, 22
	v_sub_nc_u16 v33, v10, v24
	v_mul_u32_u24_sdwa v30, v30, v37 dst_sel:DWORD dst_unused:UNUSED_PAD src0_sel:WORD_0 src1_sel:DWORD
	v_sub_nc_u16 v32, v0, v23
	v_mul_lo_u16 v23, v22, 22
	v_lshlrev_b32_sdwa v24, v26, v32 dst_sel:DWORD dst_unused:UNUSED_PAD src0_sel:DWORD src1_sel:BYTE_0
	v_sub_nc_u16 v23, v13, v23
	v_lshlrev_b32_sdwa v13, v26, v33 dst_sel:DWORD dst_unused:UNUSED_PAD src0_sel:DWORD src1_sel:WORD_0
	v_lshlrev_b32_sdwa v33, v21, v33 dst_sel:DWORD dst_unused:UNUSED_PAD src0_sel:DWORD src1_sel:WORD_0
	v_lshlrev_b32_sdwa v21, v21, v32 dst_sel:DWORD dst_unused:UNUSED_PAD src0_sel:DWORD src1_sel:BYTE_0
	global_load_dwordx2 v[24:25], v24, s[8:9] offset:44
	v_lshlrev_b32_sdwa v28, v26, v23 dst_sel:DWORD dst_unused:UNUSED_PAD src0_sel:DWORD src1_sel:WORD_0
	s_clause 0x1
	global_load_dwordx2 v[26:27], v13, s[8:9] offset:44
	global_load_dwordx2 v[28:29], v28, s[8:9] offset:44
	v_add3_u32 v31, 0, v31, v33
	v_add3_u32 v21, 0, v30, v21
	v_lshrrev_b32_e32 v13, 16, v5
	s_waitcnt vmcnt(0)
	s_barrier
	buffer_gl0_inv
	v_mul_f16_sdwa v30, v24, v34 dst_sel:DWORD dst_unused:UNUSED_PAD src0_sel:WORD_1 src1_sel:DWORD
	v_mul_f16_sdwa v32, v24, v8 dst_sel:DWORD dst_unused:UNUSED_PAD src0_sel:WORD_1 src1_sel:DWORD
	;; [unrolled: 1-line block ×8, first 2 shown]
	v_mul_f16_sdwa v44, v18, v28 dst_sel:DWORD dst_unused:UNUSED_PAD src0_sel:DWORD src1_sel:WORD_1
	v_mul_f16_sdwa v45, v19, v28 dst_sel:DWORD dst_unused:UNUSED_PAD src0_sel:DWORD src1_sel:WORD_1
	;; [unrolled: 1-line block ×4, first 2 shown]
	v_fma_f16 v8, v24, v8, -v30
	v_fmac_f16_e32 v32, v24, v34
	v_fma_f16 v6, v25, v6, -v33
	v_fmac_f16_e32 v37, v25, v35
	;; [unrolled: 2-line block ×6, first 2 shown]
	v_add_f16_e32 v18, v8, v6
	v_add_f16_e32 v26, v32, v37
	v_sub_f16_e32 v24, v32, v37
	v_add_f16_e32 v25, v32, v39
	v_add_f16_e32 v28, v9, v7
	;; [unrolled: 1-line block ×4, first 2 shown]
	v_sub_f16_e32 v8, v8, v6
	v_add_f16_e32 v33, v11, v19
	v_add_f16_e32 v34, v19, v16
	;; [unrolled: 1-line block ×3, first 2 shown]
	v_fma_f16 v18, -0.5, v18, v4
	v_fmac_f16_e32 v39, -0.5, v26
	v_add_f16_e32 v27, v5, v9
	v_sub_f16_e32 v29, v41, v43
	v_add_f16_e32 v30, v13, v41
	v_sub_f16_e32 v9, v9, v7
	v_fmac_f16_e32 v5, -0.5, v28
	v_fmac_f16_e32 v13, -0.5, v32
	v_sub_f16_e32 v35, v45, v47
	v_add_f16_e32 v36, v12, v45
	v_sub_f16_e32 v19, v19, v16
	v_add_f16_e32 v17, v17, v6
	v_add_f16_e32 v25, v25, v37
	v_add_f16_e32 v4, v33, v16
	v_fmac_f16_e32 v11, -0.5, v34
	v_fmac_f16_e32 v12, -0.5, v38
	v_fmamk_f16 v16, v24, 0x3aee, v18
	v_fmac_f16_e32 v18, 0xbaee, v24
	v_fmamk_f16 v24, v8, 0xbaee, v39
	v_fmac_f16_e32 v39, 0x3aee, v8
	v_add_f16_e32 v26, v27, v7
	v_add_f16_e32 v27, v30, v43
	v_fmamk_f16 v28, v29, 0x3aee, v5
	v_fmac_f16_e32 v5, 0xbaee, v29
	v_fmamk_f16 v29, v9, 0xbaee, v13
	v_fmac_f16_e32 v13, 0x3aee, v9
	v_add_f16_e32 v7, v36, v47
	v_fmamk_f16 v6, v35, 0x3aee, v11
	v_fmac_f16_e32 v11, 0xbaee, v35
	v_fmamk_f16 v8, v19, 0xbaee, v12
	v_pack_b32_f16 v9, v17, v25
	v_pack_b32_f16 v16, v16, v24
	v_fmac_f16_e32 v12, 0x3aee, v19
	v_pack_b32_f16 v18, v18, v39
	v_pack_b32_f16 v17, v26, v27
	;; [unrolled: 1-line block ×4, first 2 shown]
	ds_write2_b32 v21, v9, v16 offset1:22
	ds_write_b32 v21, v18 offset:176
	ds_write2_b32 v31, v17, v24 offset1:22
	ds_write_b32 v31, v25 offset:176
	s_and_saveexec_b32 s1, s0
	s_cbranch_execz .LBB0_17
; %bb.16:
	v_mov_b32_e32 v9, 2
	v_mul_lo_u16 v16, 0x42, v22
	v_perm_b32 v18, v8, v6, 0x5040100
	v_lshlrev_b32_sdwa v17, v9, v23 dst_sel:DWORD dst_unused:UNUSED_PAD src0_sel:DWORD src1_sel:WORD_0
	v_lshlrev_b32_sdwa v9, v9, v16 dst_sel:DWORD dst_unused:UNUSED_PAD src0_sel:DWORD src1_sel:WORD_0
	v_perm_b32 v16, v7, v4, 0x5040100
	v_add3_u32 v9, 0, v17, v9
	v_perm_b32 v17, v12, v11, 0x5040100
	ds_write2_b32 v9, v16, v18 offset1:22
	ds_write_b32 v9, v17 offset:176
.LBB0_17:
	s_or_b32 exec_lo, exec_lo, s1
	s_waitcnt lgkmcnt(0)
	s_barrier
	buffer_gl0_inv
	ds_read_b32 v9, v14
	ds_read_b32 v22, v14 offset:1056
	ds_read_b32 v21, v14 offset:2112
	ds_read_b32 v19, v14 offset:3168
	ds_read_b32 v17, v14 offset:4224
	v_cmp_gt_u32_e64 s0, 0x63, v0
	s_and_saveexec_b32 s1, s0
	s_cbranch_execz .LBB0_19
; %bb.18:
	ds_read_b32 v5, v14 offset:660
	ds_read_b32 v1, v14 offset:4884
	ds_read_b32 v4, v14 offset:1716
	ds_read_b32 v6, v14 offset:2772
	ds_read_b32 v11, v14 offset:3828
	s_waitcnt lgkmcnt(4)
	v_lshrrev_b32_e32 v13, 16, v5
	s_waitcnt lgkmcnt(3)
	v_lshrrev_b32_e32 v15, 16, v1
	;; [unrolled: 2-line block ×5, first 2 shown]
.LBB0_19:
	s_or_b32 exec_lo, exec_lo, s1
	v_mul_lo_u16 v16, 0xf9, v20
	v_mov_b32_e32 v28, 0x528
	s_waitcnt lgkmcnt(3)
	v_lshrrev_b32_e32 v30, 16, v22
	s_waitcnt lgkmcnt(1)
	v_lshrrev_b32_e32 v31, 16, v19
	;; [unrolled: 2-line block ×3, first 2 shown]
	v_lshrrev_b16 v20, 14, v16
	v_mov_b32_e32 v16, 4
	v_lshrrev_b32_e32 v29, 16, v9
	v_mul_lo_u16 v18, 0x42, v20
	v_mul_u32_u24_sdwa v20, v20, v28 dst_sel:DWORD dst_unused:UNUSED_PAD src0_sel:WORD_0 src1_sel:DWORD
	v_lshrrev_b32_e32 v28, 16, v21
	v_sub_nc_u16 v27, v0, v18
	v_lshlrev_b32_sdwa v18, v16, v27 dst_sel:DWORD dst_unused:UNUSED_PAD src0_sel:DWORD src1_sel:BYTE_0
	global_load_dwordx4 v[23:26], v18, s[8:9] offset:220
	v_mov_b32_e32 v18, 2
	s_waitcnt vmcnt(0)
	s_barrier
	buffer_gl0_inv
	v_lshlrev_b32_sdwa v27, v18, v27 dst_sel:DWORD dst_unused:UNUSED_PAD src0_sel:DWORD src1_sel:BYTE_0
	v_add3_u32 v20, 0, v20, v27
	v_mul_f16_sdwa v27, v23, v30 dst_sel:DWORD dst_unused:UNUSED_PAD src0_sel:WORD_1 src1_sel:DWORD
	v_mul_f16_sdwa v34, v24, v28 dst_sel:DWORD dst_unused:UNUSED_PAD src0_sel:WORD_1 src1_sel:DWORD
	;; [unrolled: 1-line block ×8, first 2 shown]
	v_fma_f16 v22, v23, v22, -v27
	v_fma_f16 v21, v24, v21, -v34
	v_fmac_f16_e32 v35, v24, v28
	v_fma_f16 v19, v25, v19, -v36
	v_fmac_f16_e32 v37, v25, v31
	;; [unrolled: 2-line block ×3, first 2 shown]
	v_fmac_f16_e32 v39, v26, v32
	v_add_f16_e32 v23, v9, v22
	v_add_f16_e32 v24, v21, v19
	v_add_f16_e32 v30, v22, v17
	v_add_f16_e32 v36, v35, v37
	v_add_f16_e32 v42, v33, v39
	v_sub_f16_e32 v25, v33, v39
	v_sub_f16_e32 v27, v22, v21
	;; [unrolled: 1-line block ×4, first 2 shown]
	v_add_f16_e32 v34, v29, v33
	v_sub_f16_e32 v22, v22, v17
	v_sub_f16_e32 v38, v21, v19
	v_add_f16_e32 v21, v23, v21
	v_fma_f16 v23, -0.5, v24, v9
	v_fmac_f16_e32 v9, -0.5, v30
	v_fma_f16 v30, -0.5, v36, v29
	v_sub_f16_e32 v26, v35, v37
	v_sub_f16_e32 v32, v19, v17
	;; [unrolled: 1-line block ×5, first 2 shown]
	v_fmac_f16_e32 v29, -0.5, v42
	v_sub_f16_e32 v41, v39, v37
	v_add_f16_e32 v24, v27, v28
	v_add_f16_e32 v28, v34, v35
	;; [unrolled: 1-line block ×3, first 2 shown]
	v_fmamk_f16 v21, v25, 0x3b9c, v23
	v_fmamk_f16 v34, v22, 0xbb9c, v30
	v_add_f16_e32 v27, v31, v32
	v_add_f16_e32 v32, v33, v43
	v_fmamk_f16 v33, v26, 0xbb9c, v9
	v_fmac_f16_e32 v9, 0x3b9c, v26
	v_fmamk_f16 v35, v38, 0x3b9c, v29
	v_fmac_f16_e32 v29, 0xbb9c, v38
	v_fmac_f16_e32 v23, 0xbb9c, v25
	;; [unrolled: 1-line block ×3, first 2 shown]
	v_add_f16_e32 v31, v40, v41
	v_add_f16_e32 v28, v28, v37
	v_fmac_f16_e32 v21, 0x38b4, v26
	v_fmac_f16_e32 v34, 0xb8b4, v38
	;; [unrolled: 1-line block ×8, first 2 shown]
	v_add_f16_e32 v17, v19, v17
	v_add_f16_e32 v19, v28, v39
	v_fmac_f16_e32 v21, 0x34f2, v24
	v_fmac_f16_e32 v34, 0x34f2, v31
	v_fmac_f16_e32 v33, 0x34f2, v27
	v_fmac_f16_e32 v9, 0x34f2, v27
	v_fmac_f16_e32 v35, 0x34f2, v32
	v_fmac_f16_e32 v29, 0x34f2, v32
	v_fmac_f16_e32 v23, 0x34f2, v24
	v_fmac_f16_e32 v30, 0x34f2, v31
	v_pack_b32_f16 v17, v17, v19
	v_pack_b32_f16 v19, v21, v34
	;; [unrolled: 1-line block ×5, first 2 shown]
	ds_write2_b32 v20, v17, v19 offset1:66
	ds_write2_b32 v20, v21, v9 offset0:132 offset1:198
	ds_write_b32 v20, v22 offset:1056
	s_and_saveexec_b32 s1, s0
	s_cbranch_execz .LBB0_21
; %bb.20:
	v_mov_b32_e32 v9, 0xf83f
	v_mul_u32_u24_sdwa v9, v10, v9 dst_sel:DWORD dst_unused:UNUSED_PAD src0_sel:WORD_0 src1_sel:DWORD
	v_lshrrev_b32_e32 v9, 22, v9
	v_mul_lo_u16 v17, 0x42, v9
	v_mul_lo_u16 v9, 0x14a, v9
	v_sub_nc_u16 v10, v10, v17
	v_lshlrev_b32_sdwa v9, v18, v9 dst_sel:DWORD dst_unused:UNUSED_PAD src0_sel:DWORD src1_sel:WORD_0
	v_lshlrev_b32_sdwa v16, v16, v10 dst_sel:DWORD dst_unused:UNUSED_PAD src0_sel:DWORD src1_sel:WORD_0
	;; [unrolled: 1-line block ×3, first 2 shown]
	global_load_dwordx4 v[19:22], v16, s[8:9] offset:220
	v_add3_u32 v9, 0, v10, v9
	s_waitcnt vmcnt(0)
	v_mul_f16_sdwa v10, v6, v20 dst_sel:DWORD dst_unused:UNUSED_PAD src0_sel:DWORD src1_sel:WORD_1
	v_mul_f16_sdwa v16, v4, v19 dst_sel:DWORD dst_unused:UNUSED_PAD src0_sel:DWORD src1_sel:WORD_1
	;; [unrolled: 1-line block ×8, first 2 shown]
	v_fmac_f16_e32 v10, v8, v20
	v_fmac_f16_e32 v16, v7, v19
	;; [unrolled: 1-line block ×4, first 2 shown]
	v_fma_f16 v6, v6, v20, -v23
	v_fma_f16 v7, v11, v21, -v24
	;; [unrolled: 1-line block ×4, first 2 shown]
	v_sub_f16_e32 v8, v10, v16
	v_sub_f16_e32 v11, v17, v18
	v_add_f16_e32 v15, v16, v18
	v_sub_f16_e32 v20, v6, v4
	v_sub_f16_e32 v21, v7, v1
	v_add_f16_e32 v23, v4, v1
	v_add_f16_e32 v27, v10, v17
	;; [unrolled: 1-line block ×3, first 2 shown]
	v_sub_f16_e32 v19, v4, v1
	v_sub_f16_e32 v22, v16, v18
	;; [unrolled: 1-line block ×5, first 2 shown]
	v_add_f16_e32 v16, v13, v16
	v_add_f16_e32 v4, v5, v4
	;; [unrolled: 1-line block ×3, first 2 shown]
	v_fma_f16 v11, -0.5, v15, v13
	v_add_f16_e32 v15, v20, v21
	v_fma_f16 v20, -0.5, v23, v5
	v_fma_f16 v13, -0.5, v27, v13
	;; [unrolled: 1-line block ×3, first 2 shown]
	v_sub_f16_e32 v12, v6, v7
	v_sub_f16_e32 v24, v10, v17
	v_sub_f16_e32 v29, v1, v7
	v_add_f16_e32 v21, v25, v26
	v_add_f16_e32 v10, v16, v10
	;; [unrolled: 1-line block ×3, first 2 shown]
	v_fmamk_f16 v25, v19, 0xbb9c, v13
	v_fmamk_f16 v26, v22, 0x3b9c, v5
	v_fmamk_f16 v6, v12, 0x3b9c, v11
	v_fmamk_f16 v16, v24, 0xbb9c, v20
	v_fmac_f16_e32 v11, 0xbb9c, v12
	v_fmac_f16_e32 v20, 0x3b9c, v24
	;; [unrolled: 1-line block ×4, first 2 shown]
	v_add_f16_e32 v23, v28, v29
	v_add_f16_e32 v10, v10, v17
	;; [unrolled: 1-line block ×3, first 2 shown]
	v_fmac_f16_e32 v25, 0xb8b4, v12
	v_fmac_f16_e32 v26, 0x38b4, v24
	;; [unrolled: 1-line block ×8, first 2 shown]
	v_add_f16_e32 v7, v10, v18
	v_add_f16_e32 v1, v4, v1
	v_fmac_f16_e32 v25, 0x34f2, v21
	v_fmac_f16_e32 v26, 0x34f2, v23
	;; [unrolled: 1-line block ×8, first 2 shown]
	v_pack_b32_f16 v1, v1, v7
	v_pack_b32_f16 v4, v26, v25
	;; [unrolled: 1-line block ×5, first 2 shown]
	ds_write2_b32 v9, v1, v4 offset1:66
	ds_write2_b32 v9, v6, v7 offset0:132 offset1:198
	ds_write_b32 v9, v5 offset:1056
.LBB0_21:
	s_or_b32 exec_lo, exec_lo, s1
	v_mul_u32_u24_e32 v1, 3, v0
	s_waitcnt lgkmcnt(0)
	s_barrier
	buffer_gl0_inv
	v_add_nc_u32_e32 v19, 0xa00, v14
	v_lshlrev_b32_e32 v1, 2, v1
	v_add_nc_u32_e32 v20, 0xf00, v14
	ds_read2_b32 v[10:11], v14 offset1:165
	s_add_u32 s1, s8, 0x1474
	s_addc_u32 s4, s9, 0
	global_load_dwordx3 v[4:6], v1, s[8:9] offset:1276
	v_add_co_u32 v1, s0, s8, v1
	v_add_co_ci_u32_e64 v8, null, s9, 0, s0
	s_mov_b32 s5, exec_lo
	v_add_co_u32 v7, s0, 0x800, v1
	v_add_co_ci_u32_e64 v8, s0, 0, v8, s0
	v_add_nc_u32_e32 v1, 0x400, v14
	global_load_dwordx3 v[7:9], v[7:8], off offset:1208
	ds_read2_b32 v[12:13], v1 offset0:74 offset1:239
	ds_read2_b32 v[15:16], v19 offset0:20 offset1:185
	ds_read2_b32 v[17:18], v20 offset0:30 offset1:195
	ds_read_u16 v21, v14 offset:4622
	s_waitcnt vmcnt(0) lgkmcnt(0)
	v_lshrrev_b32_e32 v22, 16, v10
	v_lshrrev_b32_e32 v23, 16, v11
	s_barrier
	buffer_gl0_inv
	v_lshrrev_b32_e32 v24, 16, v12
	v_lshrrev_b32_e32 v25, 16, v15
	;; [unrolled: 1-line block ×5, first 2 shown]
	v_mul_f16_sdwa v29, v4, v24 dst_sel:DWORD dst_unused:UNUSED_PAD src0_sel:WORD_1 src1_sel:DWORD
	v_mul_f16_sdwa v30, v4, v12 dst_sel:DWORD dst_unused:UNUSED_PAD src0_sel:WORD_1 src1_sel:DWORD
	;; [unrolled: 1-line block ×6, first 2 shown]
	v_fma_f16 v12, v4, v12, -v29
	v_fmac_f16_e32 v30, v4, v24
	v_fma_f16 v4, v5, v15, -v31
	v_fmac_f16_e32 v32, v5, v25
	;; [unrolled: 2-line block ×3, first 2 shown]
	v_mul_f16_sdwa v6, v7, v27 dst_sel:DWORD dst_unused:UNUSED_PAD src0_sel:WORD_1 src1_sel:DWORD
	v_mul_f16_sdwa v15, v7, v13 dst_sel:DWORD dst_unused:UNUSED_PAD src0_sel:WORD_1 src1_sel:DWORD
	;; [unrolled: 1-line block ×4, first 2 shown]
	v_mul_f16_sdwa v25, v21, v9 dst_sel:DWORD dst_unused:UNUSED_PAD src0_sel:DWORD src1_sel:WORD_1
	v_mul_f16_sdwa v26, v9, v18 dst_sel:DWORD dst_unused:UNUSED_PAD src0_sel:WORD_1 src1_sel:DWORD
	v_sub_f16_e32 v4, v10, v4
	v_sub_f16_e32 v29, v22, v32
	v_sub_f16_e32 v5, v12, v5
	v_sub_f16_e32 v31, v30, v34
	v_fma_f16 v6, v7, v13, -v6
	v_fmac_f16_e32 v15, v7, v27
	v_fma_f16 v7, v8, v16, -v17
	v_fmac_f16_e32 v24, v8, v28
	;; [unrolled: 2-line block ×3, first 2 shown]
	v_fma_f16 v10, v10, 2.0, -v4
	v_fma_f16 v13, v22, 2.0, -v29
	;; [unrolled: 1-line block ×4, first 2 shown]
	v_sub_f16_e32 v17, v4, v31
	v_add_f16_e32 v5, v29, v5
	v_sub_f16_e32 v7, v11, v7
	v_sub_f16_e32 v18, v23, v24
	;; [unrolled: 1-line block ×6, first 2 shown]
	v_fma_f16 v4, v4, 2.0, -v17
	v_fma_f16 v16, v29, 2.0, -v5
	v_pack_b32_f16 v5, v17, v5
	v_fma_f16 v11, v11, 2.0, -v7
	v_fma_f16 v17, v23, 2.0, -v18
	;; [unrolled: 1-line block ×4, first 2 shown]
	v_sub_f16_e32 v21, v7, v21
	v_add_f16_e32 v8, v18, v8
	v_fma_f16 v10, v10, 2.0, -v9
	v_sub_f16_e32 v6, v11, v6
	v_sub_f16_e32 v15, v17, v15
	v_fma_f16 v13, v13, 2.0, -v12
	v_pack_b32_f16 v9, v9, v12
	v_fma_f16 v7, v7, 2.0, -v21
	v_fma_f16 v12, v18, 2.0, -v8
	v_pack_b32_f16 v4, v4, v16
	v_fma_f16 v11, v11, 2.0, -v6
	v_fma_f16 v16, v17, 2.0, -v15
	v_pack_b32_f16 v8, v21, v8
	v_pack_b32_f16 v7, v7, v12
	;; [unrolled: 1-line block ×5, first 2 shown]
	ds_write2_b32 v20, v5, v8 offset0:30 offset1:195
	ds_write2_b32 v1, v4, v7 offset0:74 offset1:239
	;; [unrolled: 1-line block ×3, first 2 shown]
	ds_write2_b32 v14, v10, v11 offset1:165
	s_waitcnt lgkmcnt(0)
	s_barrier
	buffer_gl0_inv
	ds_read_b32 v10, v14
	v_lshlrev_b32_e32 v4, 2, v0
	v_mov_b32_e32 v1, 0
                                        ; implicit-def: $vgpr9
                                        ; implicit-def: $vgpr8
                                        ; implicit-def: $vgpr7
	v_sub_nc_u32_e32 v6, 0, v4
                                        ; implicit-def: $vgpr4_vgpr5
	v_cmpx_ne_u32_e32 0, v0
	s_xor_b32 s5, exec_lo, s5
	s_cbranch_execz .LBB0_23
; %bb.22:
	v_lshlrev_b64 v[4:5], 2, v[0:1]
	v_add_co_u32 v4, s0, s1, v4
	v_add_co_ci_u32_e64 v5, s0, s4, v5, s0
	global_load_dword v4, v[4:5], off
	ds_read_b32 v5, v6 offset:5280
	s_waitcnt lgkmcnt(0)
	v_pk_add_f16 v7, v10, v5 neg_lo:[0,1] neg_hi:[0,1]
	v_pk_add_f16 v5, v5, v10
                                        ; implicit-def: $vgpr10
	v_bfi_b32 v8, 0xffff, v7, v5
	v_bfi_b32 v5, 0xffff, v5, v7
	v_pk_mul_f16 v8, v8, 0.5 op_sel_hi:[1,0]
	v_pk_mul_f16 v9, v5, 0.5 op_sel_hi:[1,0]
	s_waitcnt vmcnt(0)
	v_pk_mul_f16 v7, v4, v8 op_sel:[1,0]
	v_pk_mul_f16 v4, v4, v8 op_sel_hi:[0,1]
	v_pk_fma_f16 v5, v5, 0.5, v7 op_sel_hi:[1,0,1]
	v_sub_f16_e32 v8, v9, v7
	v_sub_f16_sdwa v7, v7, v9 dst_sel:DWORD dst_unused:UNUSED_PAD src0_sel:WORD_1 src1_sel:WORD_1
	v_pk_add_f16 v9, v5, v4 op_sel:[0,1] op_sel_hi:[1,0]
	v_pk_add_f16 v5, v5, v4 op_sel:[0,1] op_sel_hi:[1,0] neg_lo:[0,1] neg_hi:[0,1]
	v_sub_f16_sdwa v8, v8, v4 dst_sel:DWORD dst_unused:UNUSED_PAD src0_sel:DWORD src1_sel:WORD_1
	v_sub_f16_e32 v7, v7, v4
	v_bfi_b32 v9, 0xffff, v9, v5
	v_mov_b32_e32 v5, v1
	v_mov_b32_e32 v4, v0
.LBB0_23:
	s_andn2_saveexec_b32 s0, s5
	s_cbranch_execz .LBB0_25
; %bb.24:
	v_mov_b32_e32 v7, 0
	s_waitcnt lgkmcnt(0)
	v_alignbit_b32 v4, s0, v10, 16
	v_sub_f16_sdwa v8, v10, v10 dst_sel:DWORD dst_unused:UNUSED_PAD src0_sel:DWORD src1_sel:WORD_1
	ds_read_u16 v1, v7 offset:2642
	v_pk_add_f16 v9, v4, v10
	v_mov_b32_e32 v4, 0
	v_mov_b32_e32 v5, 0
	v_pack_b32_f16 v9, v9, 0
	s_waitcnt lgkmcnt(0)
	v_xor_b32_e32 v1, 0x8000, v1
	ds_write_b16 v7, v1 offset:2642
.LBB0_25:
	s_or_b32 exec_lo, exec_lo, s0
	v_lshlrev_b64 v[4:5], 2, v[4:5]
	s_waitcnt lgkmcnt(0)
	v_add_co_u32 v10, s0, s1, v4
	v_add_co_ci_u32_e64 v11, s0, s4, v5, s0
	s_clause 0x2
	global_load_dword v1, v[10:11], off offset:660
	global_load_dword v12, v[10:11], off offset:1320
	global_load_dword v10, v[10:11], off offset:1980
	ds_write_b16 v6, v7 offset:5282
	ds_write_b32 v14, v9
	ds_write_b16 v6, v8 offset:5280
	ds_read_b32 v7, v14 offset:660
	ds_read_b32 v8, v6 offset:4620
	s_waitcnt lgkmcnt(0)
	v_pk_add_f16 v9, v7, v8 neg_lo:[0,1] neg_hi:[0,1]
	v_pk_add_f16 v7, v7, v8
	v_bfi_b32 v8, 0xffff, v9, v7
	v_bfi_b32 v7, 0xffff, v7, v9
	v_pk_mul_f16 v8, v8, 0.5 op_sel_hi:[1,0]
	v_pk_mul_f16 v7, v7, 0.5 op_sel_hi:[1,0]
	s_waitcnt vmcnt(2)
	v_pk_fma_f16 v9, v1, v8, v7 op_sel:[1,0,0]
	v_pk_mul_f16 v11, v1, v8 op_sel_hi:[0,1]
	v_pk_fma_f16 v13, v1, v8, v7 op_sel:[1,0,0] neg_lo:[1,0,0] neg_hi:[1,0,0]
	v_pk_fma_f16 v1, v1, v8, v7 op_sel:[1,0,0] neg_lo:[0,0,1] neg_hi:[0,0,1]
	v_pk_add_f16 v7, v9, v11 op_sel:[0,1] op_sel_hi:[1,0]
	v_pk_add_f16 v8, v9, v11 op_sel:[0,1] op_sel_hi:[1,0] neg_lo:[0,1] neg_hi:[0,1]
	v_pk_add_f16 v9, v13, v11 op_sel:[0,1] op_sel_hi:[1,0] neg_lo:[0,1] neg_hi:[0,1]
	;; [unrolled: 1-line block ×3, first 2 shown]
	v_bfi_b32 v7, 0xffff, v7, v8
	v_bfi_b32 v1, 0xffff, v9, v1
	ds_write_b32 v14, v7 offset:660
	ds_write_b32 v6, v1 offset:4620
	ds_read_b32 v1, v14 offset:1320
	ds_read_b32 v7, v6 offset:3960
	s_waitcnt lgkmcnt(0)
	v_pk_add_f16 v8, v1, v7 neg_lo:[0,1] neg_hi:[0,1]
	v_pk_add_f16 v1, v1, v7
	v_bfi_b32 v7, 0xffff, v8, v1
	v_bfi_b32 v1, 0xffff, v1, v8
	v_pk_mul_f16 v7, v7, 0.5 op_sel_hi:[1,0]
	v_pk_mul_f16 v9, v1, 0.5 op_sel_hi:[1,0]
	s_waitcnt vmcnt(1)
	v_pk_mul_f16 v8, v12, v7 op_sel:[1,0]
	v_pk_mul_f16 v7, v12, v7 op_sel_hi:[0,1]
	v_pk_fma_f16 v1, v1, 0.5, v8 op_sel_hi:[1,0,1]
	v_sub_f16_sdwa v11, v8, v9 dst_sel:DWORD dst_unused:UNUSED_PAD src0_sel:WORD_1 src1_sel:WORD_1
	v_sub_f16_e32 v8, v9, v8
	v_pk_add_f16 v12, v1, v7 op_sel:[0,1] op_sel_hi:[1,0]
	v_pk_add_f16 v1, v1, v7 op_sel:[0,1] op_sel_hi:[1,0] neg_lo:[0,1] neg_hi:[0,1]
	v_sub_f16_e32 v9, v11, v7
	v_sub_f16_sdwa v7, v8, v7 dst_sel:DWORD dst_unused:UNUSED_PAD src0_sel:DWORD src1_sel:WORD_1
	v_bfi_b32 v1, 0xffff, v12, v1
	ds_write_b16 v6, v9 offset:3962
	ds_write_b32 v14, v1 offset:1320
	ds_write_b16 v6, v7 offset:3960
	ds_read_b32 v1, v14 offset:1980
	ds_read_b32 v7, v6 offset:3300
	s_waitcnt lgkmcnt(0)
	v_pk_add_f16 v8, v1, v7 neg_lo:[0,1] neg_hi:[0,1]
	v_pk_add_f16 v1, v1, v7
	v_bfi_b32 v7, 0xffff, v8, v1
	v_bfi_b32 v1, 0xffff, v1, v8
	v_pk_mul_f16 v7, v7, 0.5 op_sel_hi:[1,0]
	v_pk_mul_f16 v1, v1, 0.5 op_sel_hi:[1,0]
	s_waitcnt vmcnt(0)
	v_pk_mul_f16 v9, v10, v7 op_sel_hi:[0,1]
	v_pk_fma_f16 v8, v10, v7, v1 op_sel:[1,0,0]
	v_pk_fma_f16 v11, v10, v7, v1 op_sel:[1,0,0] neg_lo:[1,0,0] neg_hi:[1,0,0]
	v_pk_fma_f16 v1, v10, v7, v1 op_sel:[1,0,0] neg_lo:[0,0,1] neg_hi:[0,0,1]
	v_pk_add_f16 v7, v8, v9 op_sel:[0,1] op_sel_hi:[1,0]
	v_pk_add_f16 v8, v8, v9 op_sel:[0,1] op_sel_hi:[1,0] neg_lo:[0,1] neg_hi:[0,1]
	v_pk_add_f16 v10, v11, v9 op_sel:[0,1] op_sel_hi:[1,0] neg_lo:[0,1] neg_hi:[0,1]
	;; [unrolled: 1-line block ×3, first 2 shown]
	v_bfi_b32 v7, 0xffff, v7, v8
	v_bfi_b32 v1, 0xffff, v10, v1
	ds_write_b32 v14, v7 offset:1980
	ds_write_b32 v6, v1 offset:3300
	s_waitcnt lgkmcnt(0)
	s_barrier
	buffer_gl0_inv
	s_and_saveexec_b32 s0, vcc_lo
	s_cbranch_execz .LBB0_28
; %bb.26:
	v_add_nc_u32_e32 v1, 0x400, v14
	v_add_nc_u32_e32 v10, 0xa00, v14
	;; [unrolled: 1-line block ×3, first 2 shown]
	ds_read2_b32 v[6:7], v14 offset1:165
	ds_read2_b32 v[8:9], v1 offset0:74 offset1:239
	v_add_co_u32 v1, vcc_lo, s2, v2
	ds_read2_b32 v[10:11], v10 offset0:20 offset1:185
	ds_read2_b32 v[12:13], v12 offset0:30 offset1:195
	v_add_co_ci_u32_e32 v2, vcc_lo, s3, v3, vcc_lo
	v_add_co_u32 v3, vcc_lo, v1, v4
	v_add_co_ci_u32_e32 v4, vcc_lo, v2, v5, vcc_lo
	v_add_co_u32 v14, vcc_lo, 0x800, v3
	s_waitcnt lgkmcnt(3)
	global_store_dword v[3:4], v6, off
	global_store_dword v[3:4], v7, off offset:660
	s_waitcnt lgkmcnt(2)
	global_store_dword v[3:4], v8, off offset:1320
	global_store_dword v[3:4], v9, off offset:1980
	v_add_co_ci_u32_e32 v15, vcc_lo, 0, v4, vcc_lo
	v_add_co_u32 v3, vcc_lo, 0x1000, v3
	v_add_co_ci_u32_e32 v4, vcc_lo, 0, v4, vcc_lo
	v_cmp_eq_u32_e32 vcc_lo, 0xa4, v0
	s_waitcnt lgkmcnt(1)
	global_store_dword v[14:15], v10, off offset:592
	global_store_dword v[14:15], v11, off offset:1252
	s_waitcnt lgkmcnt(0)
	global_store_dword v[14:15], v12, off offset:1912
	global_store_dword v[3:4], v13, off offset:524
	s_and_b32 exec_lo, exec_lo, vcc_lo
	s_cbranch_execz .LBB0_28
; %bb.27:
	v_mov_b32_e32 v0, 0
	ds_read_b32 v3, v0 offset:5280
	v_add_co_u32 v0, vcc_lo, 0x1000, v1
	v_add_co_ci_u32_e32 v1, vcc_lo, 0, v2, vcc_lo
	s_waitcnt lgkmcnt(0)
	global_store_dword v[0:1], v3, off offset:1184
.LBB0_28:
	s_endpgm
	.section	.rodata,"a",@progbits
	.p2align	6, 0x0
	.amdhsa_kernel fft_rtc_fwd_len1320_factors_11_2_3_5_4_wgs_165_tpt_165_half_ip_CI_unitstride_sbrr_R2C_dirReg
		.amdhsa_group_segment_fixed_size 0
		.amdhsa_private_segment_fixed_size 0
		.amdhsa_kernarg_size 88
		.amdhsa_user_sgpr_count 6
		.amdhsa_user_sgpr_private_segment_buffer 1
		.amdhsa_user_sgpr_dispatch_ptr 0
		.amdhsa_user_sgpr_queue_ptr 0
		.amdhsa_user_sgpr_kernarg_segment_ptr 1
		.amdhsa_user_sgpr_dispatch_id 0
		.amdhsa_user_sgpr_flat_scratch_init 0
		.amdhsa_user_sgpr_private_segment_size 0
		.amdhsa_wavefront_size32 1
		.amdhsa_uses_dynamic_stack 0
		.amdhsa_system_sgpr_private_segment_wavefront_offset 0
		.amdhsa_system_sgpr_workgroup_id_x 1
		.amdhsa_system_sgpr_workgroup_id_y 0
		.amdhsa_system_sgpr_workgroup_id_z 0
		.amdhsa_system_sgpr_workgroup_info 0
		.amdhsa_system_vgpr_workitem_id 0
		.amdhsa_next_free_vgpr 74
		.amdhsa_next_free_sgpr 21
		.amdhsa_reserve_vcc 1
		.amdhsa_reserve_flat_scratch 0
		.amdhsa_float_round_mode_32 0
		.amdhsa_float_round_mode_16_64 0
		.amdhsa_float_denorm_mode_32 3
		.amdhsa_float_denorm_mode_16_64 3
		.amdhsa_dx10_clamp 1
		.amdhsa_ieee_mode 1
		.amdhsa_fp16_overflow 0
		.amdhsa_workgroup_processor_mode 1
		.amdhsa_memory_ordered 1
		.amdhsa_forward_progress 0
		.amdhsa_shared_vgpr_count 0
		.amdhsa_exception_fp_ieee_invalid_op 0
		.amdhsa_exception_fp_denorm_src 0
		.amdhsa_exception_fp_ieee_div_zero 0
		.amdhsa_exception_fp_ieee_overflow 0
		.amdhsa_exception_fp_ieee_underflow 0
		.amdhsa_exception_fp_ieee_inexact 0
		.amdhsa_exception_int_div_zero 0
	.end_amdhsa_kernel
	.text
.Lfunc_end0:
	.size	fft_rtc_fwd_len1320_factors_11_2_3_5_4_wgs_165_tpt_165_half_ip_CI_unitstride_sbrr_R2C_dirReg, .Lfunc_end0-fft_rtc_fwd_len1320_factors_11_2_3_5_4_wgs_165_tpt_165_half_ip_CI_unitstride_sbrr_R2C_dirReg
                                        ; -- End function
	.section	.AMDGPU.csdata,"",@progbits
; Kernel info:
; codeLenInByte = 8636
; NumSgprs: 23
; NumVgprs: 74
; ScratchSize: 0
; MemoryBound: 0
; FloatMode: 240
; IeeeMode: 1
; LDSByteSize: 0 bytes/workgroup (compile time only)
; SGPRBlocks: 2
; VGPRBlocks: 9
; NumSGPRsForWavesPerEU: 23
; NumVGPRsForWavesPerEU: 74
; Occupancy: 12
; WaveLimiterHint : 1
; COMPUTE_PGM_RSRC2:SCRATCH_EN: 0
; COMPUTE_PGM_RSRC2:USER_SGPR: 6
; COMPUTE_PGM_RSRC2:TRAP_HANDLER: 0
; COMPUTE_PGM_RSRC2:TGID_X_EN: 1
; COMPUTE_PGM_RSRC2:TGID_Y_EN: 0
; COMPUTE_PGM_RSRC2:TGID_Z_EN: 0
; COMPUTE_PGM_RSRC2:TIDIG_COMP_CNT: 0
	.text
	.p2alignl 6, 3214868480
	.fill 48, 4, 3214868480
	.type	__hip_cuid_dc33e7a5ed34b244,@object ; @__hip_cuid_dc33e7a5ed34b244
	.section	.bss,"aw",@nobits
	.globl	__hip_cuid_dc33e7a5ed34b244
__hip_cuid_dc33e7a5ed34b244:
	.byte	0                               ; 0x0
	.size	__hip_cuid_dc33e7a5ed34b244, 1

	.ident	"AMD clang version 19.0.0git (https://github.com/RadeonOpenCompute/llvm-project roc-6.4.0 25133 c7fe45cf4b819c5991fe208aaa96edf142730f1d)"
	.section	".note.GNU-stack","",@progbits
	.addrsig
	.addrsig_sym __hip_cuid_dc33e7a5ed34b244
	.amdgpu_metadata
---
amdhsa.kernels:
  - .args:
      - .actual_access:  read_only
        .address_space:  global
        .offset:         0
        .size:           8
        .value_kind:     global_buffer
      - .offset:         8
        .size:           8
        .value_kind:     by_value
      - .actual_access:  read_only
        .address_space:  global
        .offset:         16
        .size:           8
        .value_kind:     global_buffer
      - .actual_access:  read_only
        .address_space:  global
        .offset:         24
        .size:           8
        .value_kind:     global_buffer
      - .offset:         32
        .size:           8
        .value_kind:     by_value
      - .actual_access:  read_only
        .address_space:  global
        .offset:         40
        .size:           8
        .value_kind:     global_buffer
      - .actual_access:  read_only
        .address_space:  global
        .offset:         48
        .size:           8
        .value_kind:     global_buffer
      - .offset:         56
        .size:           4
        .value_kind:     by_value
      - .actual_access:  read_only
        .address_space:  global
        .offset:         64
        .size:           8
        .value_kind:     global_buffer
      - .actual_access:  read_only
        .address_space:  global
        .offset:         72
        .size:           8
        .value_kind:     global_buffer
      - .address_space:  global
        .offset:         80
        .size:           8
        .value_kind:     global_buffer
    .group_segment_fixed_size: 0
    .kernarg_segment_align: 8
    .kernarg_segment_size: 88
    .language:       OpenCL C
    .language_version:
      - 2
      - 0
    .max_flat_workgroup_size: 165
    .name:           fft_rtc_fwd_len1320_factors_11_2_3_5_4_wgs_165_tpt_165_half_ip_CI_unitstride_sbrr_R2C_dirReg
    .private_segment_fixed_size: 0
    .sgpr_count:     23
    .sgpr_spill_count: 0
    .symbol:         fft_rtc_fwd_len1320_factors_11_2_3_5_4_wgs_165_tpt_165_half_ip_CI_unitstride_sbrr_R2C_dirReg.kd
    .uniform_work_group_size: 1
    .uses_dynamic_stack: false
    .vgpr_count:     74
    .vgpr_spill_count: 0
    .wavefront_size: 32
    .workgroup_processor_mode: 1
amdhsa.target:   amdgcn-amd-amdhsa--gfx1030
amdhsa.version:
  - 1
  - 2
...

	.end_amdgpu_metadata
